;; amdgpu-corpus repo=ROCm/rocFFT kind=compiled arch=gfx1201 opt=O3
	.text
	.amdgcn_target "amdgcn-amd-amdhsa--gfx1201"
	.amdhsa_code_object_version 6
	.protected	bluestein_single_fwd_len896_dim1_sp_op_CI_CI ; -- Begin function bluestein_single_fwd_len896_dim1_sp_op_CI_CI
	.globl	bluestein_single_fwd_len896_dim1_sp_op_CI_CI
	.p2align	8
	.type	bluestein_single_fwd_len896_dim1_sp_op_CI_CI,@function
bluestein_single_fwd_len896_dim1_sp_op_CI_CI: ; @bluestein_single_fwd_len896_dim1_sp_op_CI_CI
; %bb.0:
	s_load_b128 s[12:15], s[0:1], 0x28
	v_mul_u32_u24_e32 v1, 0x24a, v0
	s_mov_b32 s2, exec_lo
	v_mov_b32_e32 v49, 0
	s_delay_alu instid0(VALU_DEP_2) | instskip(NEXT) | instid1(VALU_DEP_1)
	v_lshrrev_b32_e32 v1, 16, v1
	v_add_nc_u32_e32 v48, ttmp9, v1
	s_wait_kmcnt 0x0
	s_delay_alu instid0(VALU_DEP_1)
	v_cmpx_gt_u64_e64 s[12:13], v[48:49]
	s_cbranch_execz .LBB0_10
; %bb.1:
	s_clause 0x1
	s_load_b128 s[4:7], s[0:1], 0x18
	s_load_b128 s[8:11], s[0:1], 0x0
	v_mul_lo_u16 v1, 0x70, v1
	s_movk_i32 s2, 0xf580
	s_mov_b32 s3, -1
	s_load_b64 s[0:1], s[0:1], 0x38
                                        ; implicit-def: $vgpr85
	s_delay_alu instid0(VALU_DEP_1) | instskip(NEXT) | instid1(VALU_DEP_1)
	v_sub_nc_u16 v0, v0, v1
	v_and_b32_e32 v91, 0xffff, v0
	s_wait_kmcnt 0x0
	s_load_b128 s[16:19], s[4:5], 0x0
	s_wait_kmcnt 0x0
	v_mad_co_u64_u32 v[1:2], null, s18, v48, 0
	v_mad_co_u64_u32 v[3:4], null, s16, v91, 0
	s_mul_u64 s[4:5], s[16:17], 0xe00
	s_mul_u64 s[2:3], s[16:17], s[2:3]
	s_delay_alu instid0(VALU_DEP_1) | instskip(NEXT) | instid1(VALU_DEP_1)
	v_mad_co_u64_u32 v[5:6], null, s19, v48, v[2:3]
	v_mov_b32_e32 v2, v5
	s_delay_alu instid0(VALU_DEP_3)
	v_mad_co_u64_u32 v[6:7], null, s17, v91, v[4:5]
	v_lshlrev_b32_e32 v92, 3, v91
	s_clause 0x2
	global_load_b64 v[51:52], v92, s[8:9]
	global_load_b64 v[53:54], v92, s[8:9] offset:896
	global_load_b64 v[55:56], v92, s[8:9] offset:1792
	v_mov_b32_e32 v4, v6
	v_lshlrev_b64_e32 v[1:2], 3, v[1:2]
	s_clause 0x2
	global_load_b64 v[59:60], v92, s[8:9] offset:3584
	global_load_b64 v[57:58], v92, s[8:9] offset:4480
	;; [unrolled: 1-line block ×3, first 2 shown]
	v_and_b32_e32 v27, 1, v91
	v_add_nc_u32_e32 v121, 0xe0, v91
	v_lshlrev_b64_e32 v[3:4], 3, v[3:4]
	v_lshlrev_b32_e32 v94, 4, v91
	v_add_co_u32 v1, vcc_lo, s14, v1
	v_add_co_ci_u32_e32 v2, vcc_lo, s15, v2, vcc_lo
	v_lshlrev_b32_e32 v28, 3, v27
	s_delay_alu instid0(VALU_DEP_3) | instskip(SKIP_1) | instid1(VALU_DEP_3)
	v_add_co_u32 v1, vcc_lo, v1, v3
	s_wait_alu 0xfffd
	v_add_co_ci_u32_e32 v2, vcc_lo, v2, v4, vcc_lo
	v_add_nc_u32_e32 v122, 0x150, v91
	s_delay_alu instid0(VALU_DEP_3)
	v_add_co_u32 v3, vcc_lo, v1, s4
	global_load_b64 v[7:8], v[1:2], off
	s_wait_alu 0xfffd
	v_add_co_ci_u32_e32 v4, vcc_lo, s5, v2, vcc_lo
	v_add_co_u32 v5, vcc_lo, v3, s2
	global_load_b64 v[9:10], v[3:4], off
	s_wait_alu 0xfffd
	v_add_co_ci_u32_e32 v6, vcc_lo, s3, v4, vcc_lo
	v_add_co_u32 v1, vcc_lo, v5, s4
	s_wait_alu 0xfffd
	s_delay_alu instid0(VALU_DEP_2) | instskip(NEXT) | instid1(VALU_DEP_2)
	v_add_co_ci_u32_e32 v2, vcc_lo, s5, v6, vcc_lo
	v_add_co_u32 v3, vcc_lo, v1, s2
	s_clause 0x1
	global_load_b64 v[5:6], v[5:6], off
	global_load_b64 v[11:12], v[1:2], off
	s_wait_alu 0xfffd
	v_add_co_ci_u32_e32 v4, vcc_lo, s3, v2, vcc_lo
	v_add_co_u32 v1, vcc_lo, v3, s4
	s_wait_alu 0xfffd
	s_delay_alu instid0(VALU_DEP_2)
	v_add_co_ci_u32_e32 v2, vcc_lo, s5, v4, vcc_lo
	global_load_b64 v[13:14], v[3:4], off
	v_add_co_u32 v3, vcc_lo, v1, s2
	s_wait_alu 0xfffd
	v_add_co_ci_u32_e32 v4, vcc_lo, s3, v2, vcc_lo
	global_load_b64 v[15:16], v[1:2], off
	v_add_co_u32 v1, vcc_lo, v3, s4
	s_wait_alu 0xfffd
	v_add_co_ci_u32_e32 v2, vcc_lo, s5, v4, vcc_lo
	v_cmp_gt_u16_e32 vcc_lo, 16, v0
	s_wait_loadcnt 0x5
	v_mul_f32_e32 v21, v8, v52
	global_load_b64 v[61:62], v92, s[8:9] offset:2688
	global_load_b64 v[17:18], v[3:4], off
	global_load_b64 v[63:64], v92, s[8:9] offset:6272
	global_load_b64 v[19:20], v[1:2], off
	v_add_nc_u32_e32 v4, 0x1400, v92
	v_mul_f32_e32 v22, v7, v52
	v_dual_fmac_f32 v21, v7, v51 :: v_dual_add_nc_u32 v2, 0x400, v92
	s_wait_loadcnt 0x8
	v_mul_f32_e32 v24, v9, v60
	v_add_nc_u32_e32 v3, 0xc00, v92
	v_mul_f32_e32 v7, v10, v60
	v_add_nc_u32_e32 v1, 0x1000, v92
	s_load_b128 s[4:7], s[6:7], 0x0
	v_add_co_u32 v87, s2, s8, v92
	s_wait_alu 0xf1ff
	v_add_co_ci_u32_e64 v88, null, s9, 0, s2
	s_wait_loadcnt 0x7
	v_mul_f32_e32 v23, v6, v54
	v_mul_f32_e32 v25, v5, v54
	v_fma_f32 v22, v8, v51, -v22
	s_delay_alu instid0(VALU_DEP_3)
	v_fmac_f32_e32 v23, v5, v53
	s_wait_loadcnt 0x6
	v_mul_f32_e32 v5, v12, v58
	v_fma_f32 v8, v10, v59, -v24
	v_fma_f32 v24, v6, v53, -v25
	v_mul_f32_e32 v6, v11, v58
	s_wait_loadcnt 0x5
	v_dual_mul_f32 v10, v13, v56 :: v_dual_fmac_f32 v5, v11, v57
	s_delay_alu instid0(VALU_DEP_2)
	v_fma_f32 v6, v12, v57, -v6
	s_wait_loadcnt 0x4
	v_dual_mul_f32 v12, v15, v50 :: v_dual_fmac_f32 v7, v9, v59
	v_mul_f32_e32 v9, v14, v56
	v_mul_f32_e32 v11, v16, v50
	v_fma_f32 v10, v14, v55, -v10
	s_delay_alu instid0(VALU_DEP_4) | instskip(SKIP_1) | instid1(VALU_DEP_3)
	v_fma_f32 v12, v16, v49, -v12
	s_wait_loadcnt 0x2
	v_dual_fmac_f32 v11, v15, v49 :: v_dual_mul_f32 v14, v17, v62
	v_fmac_f32_e32 v9, v13, v55
	v_mul_f32_e32 v13, v18, v62
	s_wait_loadcnt 0x0
	v_mul_f32_e32 v15, v20, v64
	v_mul_f32_e32 v25, v19, v64
	v_fma_f32 v14, v18, v61, -v14
	v_fmac_f32_e32 v13, v17, v61
	s_delay_alu instid0(VALU_DEP_4) | instskip(NEXT) | instid1(VALU_DEP_4)
	v_fmac_f32_e32 v15, v19, v63
	v_fma_f32 v16, v20, v63, -v25
	ds_store_b64 v92, v[7:8] offset:3584
	ds_store_2addr_b64 v92, v[21:22], v[23:24] offset1:112
	ds_store_2addr_b64 v1, v[5:6], v[11:12] offset0:48 offset1:160
	ds_store_2addr_b64 v2, v[9:10], v[13:14] offset0:96 offset1:208
	ds_store_b64 v92, v[15:16] offset:6272
	global_wb scope:SCOPE_SE
	s_wait_dscnt 0x0
	s_wait_kmcnt 0x0
	s_barrier_signal -1
	s_barrier_wait -1
	global_inv scope:SCOPE_SE
	ds_load_2addr_b64 v[5:8], v92 offset1:112
	ds_load_2addr_b64 v[9:12], v3 offset0:64 offset1:176
	ds_load_2addr_b64 v[13:16], v2 offset0:96 offset1:208
	;; [unrolled: 1-line block ×3, first 2 shown]
	v_add_co_u32 v1, null, 0x70, v91
	global_wb scope:SCOPE_SE
	s_wait_dscnt 0x0
	s_barrier_signal -1
	s_barrier_wait -1
	v_lshlrev_b32_e32 v93, 4, v1
	global_inv scope:SCOPE_SE
	v_dual_sub_f32 v21, v5, v9 :: v_dual_sub_f32 v22, v6, v10
	v_dual_sub_f32 v9, v7, v11 :: v_dual_sub_f32 v10, v8, v12
	;; [unrolled: 1-line block ×4, first 2 shown]
	s_delay_alu instid0(VALU_DEP_4)
	v_fma_f32 v19, v5, 2.0, -v21
	v_fma_f32 v20, v6, 2.0, -v22
	;; [unrolled: 1-line block ×8, first 2 shown]
	ds_store_b128 v94, v[19:22]
	ds_store_b128 v93, v[7:10]
	ds_store_b128 v94, v[23:26] offset:3584
	ds_store_b128 v94, v[15:18] offset:5376
	global_wb scope:SCOPE_SE
	s_wait_dscnt 0x0
	s_barrier_signal -1
	s_barrier_wait -1
	global_inv scope:SCOPE_SE
	global_load_b64 v[65:66], v28, s[10:11]
	ds_load_2addr_b64 v[9:12], v3 offset0:64 offset1:176
	ds_load_2addr_b64 v[13:16], v4 offset0:32 offset1:144
	v_lshlrev_b32_e32 v8, 1, v91
	s_wait_loadcnt_dscnt 0x0
	v_mul_f32_e32 v32, v13, v66
	v_mul_f32_e32 v28, v9, v66
	;; [unrolled: 1-line block ×3, first 2 shown]
	v_lshlrev_b32_e32 v5, 1, v122
	v_and_or_b32 v17, 0xfc, v8, v27
	v_mul_f32_e32 v34, v15, v66
	v_fmac_f32_e32 v28, v10, v65
	v_fmac_f32_e32 v30, v12, v65
	v_lshlrev_b32_e32 v7, 1, v1
	v_lshlrev_b32_e32 v6, 1, v121
	v_and_or_b32 v20, 0x3fc, v5, v27
	v_lshlrev_b32_e32 v98, 3, v17
	v_fmac_f32_e32 v34, v16, v65
	v_and_or_b32 v18, 0x1fc, v7, v27
	v_and_or_b32 v19, 0x3fc, v6, v27
	v_mul_f32_e32 v27, v10, v66
	v_lshlrev_b32_e32 v95, 3, v20
	v_dual_fmac_f32 v32, v14, v65 :: v_dual_and_b32 v25, 3, v91
	v_lshlrev_b32_e32 v97, 3, v18
	v_lshlrev_b32_e32 v96, 3, v19
	ds_load_2addr_b64 v[17:20], v92 offset1:112
	ds_load_2addr_b64 v[21:24], v2 offset0:96 offset1:208
	v_mul_f32_e32 v29, v12, v66
	v_mul_f32_e32 v31, v14, v66
	;; [unrolled: 1-line block ×3, first 2 shown]
	v_fma_f32 v9, v9, v65, -v27
	v_lshlrev_b32_e32 v26, 3, v25
	global_wb scope:SCOPE_SE
	s_wait_dscnt 0x0
	v_fma_f32 v13, v13, v65, -v31
	v_fma_f32 v15, v15, v65, -v33
	s_barrier_signal -1
	s_barrier_wait -1
	global_inv scope:SCOPE_SE
	v_dual_sub_f32 v9, v17, v9 :: v_dual_sub_f32 v14, v22, v32
	v_fma_f32 v11, v11, v65, -v29
	v_sub_f32_e32 v10, v18, v28
	v_dual_sub_f32 v12, v20, v30 :: v_dual_sub_f32 v13, v21, v13
	v_sub_f32_e32 v15, v23, v15
	s_delay_alu instid0(VALU_DEP_4) | instskip(SKIP_3) | instid1(VALU_DEP_4)
	v_dual_sub_f32 v11, v19, v11 :: v_dual_sub_f32 v16, v24, v34
	v_fma_f32 v17, v17, 2.0, -v9
	v_fma_f32 v18, v18, 2.0, -v10
	;; [unrolled: 1-line block ×8, first 2 shown]
	ds_store_2addr_b64 v98, v[17:18], v[9:10] offset1:2
	ds_store_2addr_b64 v97, v[19:20], v[11:12] offset1:2
	;; [unrolled: 1-line block ×4, first 2 shown]
	global_wb scope:SCOPE_SE
	s_wait_dscnt 0x0
	s_barrier_signal -1
	s_barrier_wait -1
	global_inv scope:SCOPE_SE
	global_load_b64 v[67:68], v26, s[10:11] offset:16
	ds_load_2addr_b64 v[9:12], v3 offset0:64 offset1:176
	ds_load_2addr_b64 v[13:16], v4 offset0:32 offset1:144
	v_and_or_b32 v17, 0xf8, v8, v25
	v_and_or_b32 v18, 0x1f8, v7, v25
	;; [unrolled: 1-line block ×4, first 2 shown]
	v_and_b32_e32 v26, 7, v91
	v_lshlrev_b32_e32 v102, 3, v17
	s_delay_alu instid0(VALU_DEP_4) | instskip(SKIP_1) | instid1(VALU_DEP_3)
	v_lshlrev_b32_e32 v100, 3, v19
	s_wait_loadcnt_dscnt 0x0
	v_dual_mul_f32 v34, v15, v68 :: v_dual_lshlrev_b32 v25, 3, v26
	v_dual_mul_f32 v28, v9, v68 :: v_dual_lshlrev_b32 v101, 3, v18
	v_mul_f32_e32 v30, v11, v68
	v_lshlrev_b32_e32 v99, 3, v20
	ds_load_2addr_b64 v[17:20], v92 offset1:112
	ds_load_2addr_b64 v[21:24], v2 offset0:96 offset1:208
	v_dual_mul_f32 v27, v10, v68 :: v_dual_fmac_f32 v34, v16, v67
	v_mul_f32_e32 v32, v13, v68
	v_mul_f32_e32 v29, v12, v68
	v_dual_fmac_f32 v30, v12, v67 :: v_dual_mul_f32 v31, v14, v68
	v_mul_f32_e32 v33, v16, v68
	v_fma_f32 v9, v9, v67, -v27
	v_fmac_f32_e32 v28, v10, v67
	v_fmac_f32_e32 v32, v14, v67
	v_fma_f32 v11, v11, v67, -v29
	v_fma_f32 v15, v15, v67, -v33
	global_wb scope:SCOPE_SE
	s_wait_dscnt 0x0
	s_barrier_signal -1
	s_barrier_wait -1
	global_inv scope:SCOPE_SE
	v_sub_f32_e32 v12, v20, v30
	v_fma_f32 v13, v13, v67, -v31
	v_dual_sub_f32 v9, v17, v9 :: v_dual_sub_f32 v10, v18, v28
	v_dual_sub_f32 v11, v19, v11 :: v_dual_sub_f32 v14, v22, v32
	s_delay_alu instid0(VALU_DEP_3) | instskip(SKIP_1) | instid1(VALU_DEP_4)
	v_dual_sub_f32 v13, v21, v13 :: v_dual_sub_f32 v16, v24, v34
	v_sub_f32_e32 v15, v23, v15
	v_fma_f32 v17, v17, 2.0, -v9
	v_fma_f32 v18, v18, 2.0, -v10
	;; [unrolled: 1-line block ×8, first 2 shown]
	ds_store_2addr_b64 v102, v[17:18], v[9:10] offset1:4
	ds_store_2addr_b64 v101, v[19:20], v[11:12] offset1:4
	;; [unrolled: 1-line block ×4, first 2 shown]
	global_wb scope:SCOPE_SE
	s_wait_dscnt 0x0
	s_barrier_signal -1
	s_barrier_wait -1
	global_inv scope:SCOPE_SE
	global_load_b64 v[69:70], v25, s[10:11] offset:48
	ds_load_2addr_b64 v[9:12], v3 offset0:64 offset1:176
	ds_load_2addr_b64 v[13:16], v4 offset0:32 offset1:144
	v_and_or_b32 v17, 0xf0, v8, v26
	v_and_or_b32 v18, 0x1f0, v7, v26
	;; [unrolled: 1-line block ×4, first 2 shown]
	v_and_b32_e32 v25, 15, v91
	v_lshlrev_b32_e32 v106, 3, v17
	s_delay_alu instid0(VALU_DEP_4)
	v_lshlrev_b32_e32 v104, 3, v19
	s_wait_loadcnt_dscnt 0x1
	v_dual_mul_f32 v30, v11, v70 :: v_dual_lshlrev_b32 v103, 3, v20
	v_mul_f32_e32 v28, v9, v70
	v_lshlrev_b32_e32 v105, 3, v18
	ds_load_2addr_b64 v[17:20], v92 offset1:112
	ds_load_2addr_b64 v[21:24], v2 offset0:96 offset1:208
	v_mul_f32_e32 v27, v10, v70
	s_wait_dscnt 0x2
	v_mul_f32_e32 v32, v13, v70
	v_mul_f32_e32 v29, v12, v70
	v_dual_mul_f32 v31, v14, v70 :: v_dual_fmac_f32 v30, v12, v69
	v_fma_f32 v9, v9, v69, -v27
	v_mul_f32_e32 v34, v15, v70
	v_dual_fmac_f32 v28, v10, v69 :: v_dual_mul_f32 v33, v16, v70
	v_fmac_f32_e32 v32, v14, v69
	v_fma_f32 v11, v11, v69, -v29
	v_fma_f32 v13, v13, v69, -v31
	v_and_b32_e32 v29, 31, v122
	v_lshlrev_b32_e32 v26, 3, v25
	global_wb scope:SCOPE_SE
	s_wait_dscnt 0x0
	s_barrier_signal -1
	s_barrier_wait -1
	global_inv scope:SCOPE_SE
	v_dual_sub_f32 v9, v17, v9 :: v_dual_sub_f32 v10, v18, v28
	v_fma_f32 v15, v15, v69, -v33
	v_dual_fmac_f32 v34, v16, v69 :: v_dual_sub_f32 v11, v19, v11
	v_dual_sub_f32 v12, v20, v30 :: v_dual_sub_f32 v13, v21, v13
	s_delay_alu instid0(VALU_DEP_3) | instskip(NEXT) | instid1(VALU_DEP_3)
	v_dual_sub_f32 v14, v22, v32 :: v_dual_sub_f32 v15, v23, v15
	v_sub_f32_e32 v16, v24, v34
	v_fma_f32 v17, v17, 2.0, -v9
	v_fma_f32 v18, v18, 2.0, -v10
	;; [unrolled: 1-line block ×8, first 2 shown]
	ds_store_2addr_b64 v106, v[17:18], v[9:10] offset1:8
	ds_store_2addr_b64 v105, v[19:20], v[11:12] offset1:8
	;; [unrolled: 1-line block ×4, first 2 shown]
	global_wb scope:SCOPE_SE
	s_wait_dscnt 0x0
	s_barrier_signal -1
	s_barrier_wait -1
	global_inv scope:SCOPE_SE
	global_load_b64 v[71:72], v26, s[10:11] offset:112
	ds_load_2addr_b64 v[9:12], v3 offset0:64 offset1:176
	ds_load_2addr_b64 v[13:16], v4 offset0:32 offset1:144
	v_and_b32_e32 v26, 31, v91
	v_and_or_b32 v17, 0xe0, v8, v25
	v_and_or_b32 v18, 0x1e0, v7, v25
	v_and_or_b32 v19, 0x3e0, v6, v25
	v_and_or_b32 v20, 0x3e0, v5, v25
	v_and_b32_e32 v28, 31, v1
	v_lshlrev_b32_e32 v112, 3, v17
	v_lshlrev_b32_e32 v111, 3, v18
	s_wait_loadcnt_dscnt 0x0
	v_dual_mul_f32 v37, v15, v72 :: v_dual_lshlrev_b32 v110, 3, v19
	v_mul_f32_e32 v31, v9, v72
	v_mul_f32_e32 v36, v16, v72
	v_mul_f32_e32 v30, v10, v72
	v_mul_f32_e32 v33, v11, v72
	s_delay_alu instid0(VALU_DEP_4)
	v_dual_mul_f32 v32, v12, v72 :: v_dual_fmac_f32 v31, v10, v71
	v_lshlrev_b32_e32 v109, 3, v20
	ds_load_2addr_b64 v[17:20], v92 offset1:112
	ds_load_2addr_b64 v[21:24], v2 offset0:96 offset1:208
	v_dual_mul_f32 v34, v14, v72 :: v_dual_fmac_f32 v33, v12, v71
	v_mul_f32_e32 v35, v13, v72
	v_fma_f32 v9, v9, v71, -v30
	v_fma_f32 v11, v11, v71, -v32
	s_delay_alu instid0(VALU_DEP_4)
	v_fma_f32 v13, v13, v71, -v34
	v_fma_f32 v15, v15, v71, -v36
	v_fmac_f32_e32 v35, v14, v71
	v_dual_fmac_f32 v37, v16, v71 :: v_dual_and_b32 v30, 63, v1
	v_lshlrev_b32_e32 v27, 3, v26
	v_lshlrev_b32_e32 v25, 3, v29
	v_and_b32_e32 v32, 63, v122
	global_wb scope:SCOPE_SE
	s_wait_dscnt 0x0
	s_barrier_signal -1
	s_barrier_wait -1
	global_inv scope:SCOPE_SE
	v_sub_f32_e32 v10, v18, v31
	v_sub_f32_e32 v12, v20, v33
	v_dual_sub_f32 v9, v17, v9 :: v_dual_sub_f32 v14, v22, v35
	v_dual_sub_f32 v11, v19, v11 :: v_dual_sub_f32 v16, v24, v37
	v_sub_f32_e32 v13, v21, v13
	v_sub_f32_e32 v15, v23, v15
	s_delay_alu instid0(VALU_DEP_4)
	v_fma_f32 v17, v17, 2.0, -v9
	v_fma_f32 v18, v18, 2.0, -v10
	;; [unrolled: 1-line block ×8, first 2 shown]
	ds_store_2addr_b64 v112, v[17:18], v[9:10] offset1:16
	ds_store_2addr_b64 v111, v[19:20], v[11:12] offset1:16
	;; [unrolled: 1-line block ×4, first 2 shown]
	global_wb scope:SCOPE_SE
	s_wait_dscnt 0x0
	s_barrier_signal -1
	s_barrier_wait -1
	global_inv scope:SCOPE_SE
	s_clause 0x1
	global_load_b64 v[73:74], v27, s[10:11] offset:240
	global_load_b64 v[75:76], v25, s[10:11] offset:240
	v_lshlrev_b32_e32 v9, 3, v28
	s_clause 0x1
	global_load_b32 v108, v25, s[10:11] offset:244
	global_load_b32 v107, v9, s[10:11] offset:240
	ds_load_2addr_b64 v[13:16], v4 offset0:32 offset1:144
	ds_load_2addr_b64 v[9:12], v3 offset0:64 offset1:176
	v_and_or_b32 v17, 0xc0, v8, v26
	v_and_or_b32 v18, 0x3c0, v6, v26
	;; [unrolled: 1-line block ×3, first 2 shown]
	v_and_b32_e32 v25, 63, v91
	v_lshlrev_b32_e32 v26, 3, v30
	v_and_or_b32 v5, 0x380, v5, v32
	s_delay_alu instid0(VALU_DEP_4) | instskip(NEXT) | instid1(VALU_DEP_2)
	v_lshlrev_b32_e32 v114, 3, v19
	v_lshlrev_b32_e32 v117, 3, v5
	s_wait_loadcnt_dscnt 0x301
	v_mul_f32_e32 v37, v13, v74
	s_wait_dscnt 0x0
	v_mul_f32_e32 v33, v9, v74
	s_wait_loadcnt 0x2
	v_mul_f32_e32 v35, v11, v76
	v_dual_mul_f32 v29, v10, v74 :: v_dual_mul_f32 v34, v12, v76
	v_fmac_f32_e32 v37, v14, v73
	s_wait_loadcnt 0x1
	v_mul_f32_e32 v39, v15, v108
	v_fmac_f32_e32 v33, v10, v73
	v_lshlrev_b32_e32 v115, 3, v18
	s_wait_loadcnt 0x0
	v_dual_fmac_f32 v35, v12, v107 :: v_dual_mul_f32 v36, v14, v74
	v_fmac_f32_e32 v39, v16, v75
	v_lshlrev_b32_e32 v113, 3, v17
	v_and_or_b32 v17, 0x1c0, v7, v28
	v_dual_mul_f32 v38, v16, v108 :: v_dual_lshlrev_b32 v27, 3, v25
	v_fma_f32 v9, v9, v73, -v29
	v_fma_f32 v11, v11, v107, -v34
	s_delay_alu instid0(VALU_DEP_4)
	v_lshlrev_b32_e32 v116, 3, v17
	ds_load_2addr_b64 v[17:20], v92 offset1:112
	ds_load_2addr_b64 v[21:24], v2 offset0:96 offset1:208
	v_and_b32_e32 v31, 63, v121
	v_fma_f32 v13, v13, v73, -v36
	v_fma_f32 v15, v15, v75, -v38
	global_wb scope:SCOPE_SE
	s_wait_dscnt 0x0
	s_barrier_signal -1
	s_barrier_wait -1
	global_inv scope:SCOPE_SE
                                        ; implicit-def: $vgpr34
                                        ; implicit-def: $vgpr38
	v_sub_f32_e32 v12, v20, v35
	v_lshlrev_b32_e32 v28, 3, v31
	v_and_or_b32 v6, 0x380, v6, v31
	v_sub_f32_e32 v9, v17, v9
	v_sub_f32_e32 v11, v19, v11
	;; [unrolled: 1-line block ×4, first 2 shown]
	v_lshlrev_b32_e32 v118, 3, v6
	v_dual_sub_f32 v10, v18, v33 :: v_dual_sub_f32 v15, v23, v15
	v_sub_f32_e32 v16, v24, v39
	v_fma_f32 v17, v17, 2.0, -v9
	v_fma_f32 v19, v19, 2.0, -v11
	s_delay_alu instid0(VALU_DEP_4)
	v_fma_f32 v18, v18, 2.0, -v10
	v_fma_f32 v20, v20, 2.0, -v12
	;; [unrolled: 1-line block ×6, first 2 shown]
	ds_store_2addr_b64 v113, v[17:18], v[9:10] offset1:32
	ds_store_2addr_b64 v116, v[19:20], v[11:12] offset1:32
	ds_store_2addr_b64 v115, v[21:22], v[13:14] offset1:32
	ds_store_2addr_b64 v114, v[23:24], v[15:16] offset1:32
	global_wb scope:SCOPE_SE
	s_wait_dscnt 0x0
	s_barrier_signal -1
	s_barrier_wait -1
	global_inv scope:SCOPE_SE
	global_load_b64 v[81:82], v27, s[10:11] offset:496
	v_lshlrev_b32_e32 v9, 3, v32
	s_clause 0x2
	global_load_b64 v[83:84], v26, s[10:11] offset:496
	global_load_b64 v[79:80], v28, s[10:11] offset:496
	;; [unrolled: 1-line block ×3, first 2 shown]
	ds_load_2addr_b64 v[9:12], v3 offset0:64 offset1:176
	ds_load_2addr_b64 v[13:16], v4 offset0:32 offset1:144
	v_and_or_b32 v3, 0x80, v8, v25
	v_and_or_b32 v4, 0x180, v7, v30
	s_delay_alu instid0(VALU_DEP_2) | instskip(NEXT) | instid1(VALU_DEP_2)
	v_lshlrev_b32_e32 v120, 3, v3
	v_lshlrev_b32_e32 v119, 3, v4
	ds_load_2addr_b64 v[3:6], v92 offset1:112
	ds_load_2addr_b64 v[17:20], v2 offset0:96 offset1:208
	global_wb scope:SCOPE_SE
	s_wait_loadcnt_dscnt 0x0
	s_barrier_signal -1
	s_barrier_wait -1
	global_inv scope:SCOPE_SE
	v_mul_f32_e32 v2, v10, v82
	v_dual_mul_f32 v8, v9, v82 :: v_dual_mul_f32 v7, v12, v84
	v_mul_f32_e32 v21, v11, v84
	v_mul_f32_e32 v22, v14, v80
	v_dual_mul_f32 v23, v13, v80 :: v_dual_mul_f32 v24, v16, v78
	v_mul_f32_e32 v25, v15, v78
	v_fma_f32 v2, v9, v81, -v2
	v_fmac_f32_e32 v8, v10, v81
	v_fma_f32 v9, v11, v83, -v7
	v_fmac_f32_e32 v21, v12, v83
	;; [unrolled: 2-line block ×4, first 2 shown]
	v_dual_sub_f32 v7, v3, v2 :: v_dual_sub_f32 v8, v4, v8
	v_sub_f32_e32 v9, v5, v9
	s_delay_alu instid0(VALU_DEP_4)
	v_sub_f32_e32 v24, v19, v13
	v_dual_sub_f32 v10, v6, v21 :: v_dual_sub_f32 v11, v17, v11
	v_dual_sub_f32 v12, v18, v23 :: v_dual_sub_f32 v25, v20, v25
	v_fma_f32 v2, v3, 2.0, -v7
	v_fma_f32 v3, v4, 2.0, -v8
	;; [unrolled: 1-line block ×8, first 2 shown]
	ds_store_2addr_stride64_b64 v120, v[2:3], v[7:8] offset1:1
	ds_store_2addr_stride64_b64 v119, v[4:5], v[9:10] offset1:1
	;; [unrolled: 1-line block ×4, first 2 shown]
	global_wb scope:SCOPE_SE
	s_wait_dscnt 0x0
	s_barrier_signal -1
	s_barrier_wait -1
	global_inv scope:SCOPE_SE
	ds_load_2addr_stride64_b64 v[28:31], v92 offset1:2
	ds_load_2addr_stride64_b64 v[44:47], v92 offset0:4 offset1:6
	ds_load_2addr_stride64_b64 v[40:43], v92 offset0:8 offset1:10
	ds_load_b64 v[89:90], v92 offset:6144
	s_and_saveexec_b32 s2, vcc_lo
	s_cbranch_execz .LBB0_3
; %bb.2:
	v_add_nc_u32_e32 v0, 0x180, v92
	ds_load_2addr_b64 v[24:27], v92 offset0:112 offset1:240
	ds_load_2addr_stride64_b64 v[32:35], v0 offset0:5 offset1:7
	ds_load_2addr_stride64_b64 v[36:39], v0 offset0:9 offset1:11
	ds_load_b64 v[85:86], v92 offset:7040
.LBB0_3:
	s_wait_alu 0xfffe
	s_or_b32 exec_lo, exec_lo, s2
	v_mad_co_u64_u32 v[2:3], null, v91, 48, s[10:11]
	s_clause 0x2
	global_load_b128 v[20:23], v[2:3], off offset:1008
	global_load_b128 v[16:19], v[2:3], off offset:1024
	;; [unrolled: 1-line block ×3, first 2 shown]
	v_and_b32_e32 v0, 0x7f, v1
	v_lshlrev_b32_e32 v123, 4, v121
	s_wait_loadcnt_dscnt 0x203
	v_dual_mul_f32 v122, v31, v21 :: v_dual_lshlrev_b32 v121, 4, v122
	s_wait_dscnt 0x2
	v_mul_f32_e32 v125, v45, v23
	v_mad_co_u64_u32 v[8:9], null, v0, 48, s[10:11]
	s_wait_loadcnt_dscnt 0x101
	v_dual_mul_f32 v124, v30, v21 :: v_dual_mul_f32 v129, v41, v19
	v_dual_mul_f32 v126, v44, v23 :: v_dual_mul_f32 v127, v47, v17
	v_mul_f32_e32 v130, v40, v19
	s_clause 0x2
	global_load_b128 v[4:7], v[8:9], off offset:1008
	global_load_b128 v[0:3], v[8:9], off offset:1024
	;; [unrolled: 1-line block ×3, first 2 shown]
	v_mul_f32_e32 v128, v46, v17
	s_wait_loadcnt_dscnt 0x300
	v_dual_mul_f32 v131, v43, v13 :: v_dual_mul_f32 v134, v89, v15
	v_mul_f32_e32 v132, v42, v13
	v_dual_mul_f32 v133, v90, v15 :: v_dual_fmac_f32 v124, v31, v20
	v_fma_f32 v30, v30, v20, -v122
	v_fma_f32 v31, v44, v22, -v125
	v_fmac_f32_e32 v126, v45, v22
	v_fmac_f32_e32 v128, v47, v16
	v_fma_f32 v40, v40, v18, -v129
	v_fmac_f32_e32 v130, v41, v18
	v_fma_f32 v41, v42, v12, -v131
	v_fma_f32 v42, v89, v14, -v133
	v_fmac_f32_e32 v134, v90, v14
	v_fma_f32 v44, v46, v16, -v127
	s_wait_loadcnt 0x2
	v_mul_f32_e32 v47, v32, v7
	s_wait_loadcnt 0x1
	v_mul_f32_e32 v125, v36, v3
	;; [unrolled: 2-line block ×3, first 2 shown]
	v_dual_fmac_f32 v132, v43, v12 :: v_dual_mul_f32 v129, v38, v9
	v_dual_mul_f32 v122, v37, v3 :: v_dual_mul_f32 v43, v27, v5
	v_dual_mul_f32 v45, v26, v5 :: v_dual_mul_f32 v46, v33, v7
	v_mul_f32_e32 v89, v35, v1
	v_dual_mul_f32 v90, v34, v1 :: v_dual_mul_f32 v133, v85, v11
	v_mul_f32_e32 v131, v86, v11
	v_fmac_f32_e32 v47, v33, v6
	v_fmac_f32_e32 v125, v37, v2
	;; [unrolled: 1-line block ×3, first 2 shown]
	v_fma_f32 v33, v36, v2, -v122
	v_dual_add_f32 v36, v30, v42 :: v_dual_add_f32 v39, v31, v41
	v_add_f32_e32 v37, v124, v134
	v_dual_sub_f32 v30, v30, v42 :: v_dual_sub_f32 v31, v31, v41
	v_add_f32_e32 v42, v126, v132
	v_fma_f32 v26, v26, v4, -v43
	v_fmac_f32_e32 v45, v27, v4
	v_fma_f32 v27, v32, v6, -v46
	v_fma_f32 v32, v34, v0, -v89
	v_fmac_f32_e32 v90, v35, v0
	v_fma_f32 v34, v38, v8, -v127
	v_fma_f32 v35, v85, v10, -v131
	v_dual_sub_f32 v38, v124, v134 :: v_dual_sub_f32 v41, v126, v132
	v_add_f32_e32 v43, v44, v40
	v_fmac_f32_e32 v133, v86, v10
	v_dual_add_f32 v46, v128, v130 :: v_dual_add_f32 v85, v39, v36
	v_sub_f32_e32 v40, v40, v44
	v_sub_f32_e32 v44, v130, v128
	v_dual_add_f32 v86, v42, v37 :: v_dual_sub_f32 v89, v39, v36
	v_sub_f32_e32 v122, v42, v37
	v_dual_sub_f32 v36, v36, v43 :: v_dual_sub_f32 v37, v37, v46
	v_add_f32_e32 v124, v40, v31
	v_dual_sub_f32 v39, v43, v39 :: v_dual_sub_f32 v42, v46, v42
	v_add_f32_e32 v126, v44, v41
	v_dual_sub_f32 v127, v40, v31 :: v_dual_sub_f32 v40, v30, v40
	v_dual_sub_f32 v128, v44, v41 :: v_dual_sub_f32 v41, v41, v38
	v_dual_sub_f32 v44, v38, v44 :: v_dual_add_f32 v131, v45, v133
	v_dual_sub_f32 v31, v31, v30 :: v_dual_add_f32 v130, v26, v35
	v_dual_sub_f32 v26, v26, v35 :: v_dual_sub_f32 v35, v45, v133
	v_add_f32_e32 v45, v27, v34
	v_add_f32_e32 v132, v47, v129
	v_sub_f32_e32 v27, v27, v34
	v_sub_f32_e32 v34, v47, v129
	v_dual_add_f32 v47, v32, v33 :: v_dual_add_f32 v46, v46, v86
	v_dual_add_f32 v129, v90, v125 :: v_dual_add_f32 v30, v124, v30
	v_sub_f32_e32 v32, v33, v32
	v_sub_f32_e32 v33, v125, v90
	v_dual_add_f32 v43, v43, v85 :: v_dual_add_f32 v38, v126, v38
	v_dual_mul_f32 v85, 0x3f4a47b2, v36 :: v_dual_mul_f32 v86, 0x3f4a47b2, v37
	v_dual_add_f32 v133, v45, v130 :: v_dual_mul_f32 v90, 0x3d64c772, v39
	v_sub_f32_e32 v135, v45, v130
	v_mul_f32_e32 v124, 0x3d64c772, v42
	v_dual_mul_f32 v125, 0xbf08b237, v127 :: v_dual_mul_f32 v126, 0xbf08b237, v128
	v_dual_mul_f32 v127, 0x3f5ff5aa, v31 :: v_dual_mul_f32 v128, 0x3f5ff5aa, v41
	v_dual_add_f32 v134, v132, v131 :: v_dual_sub_f32 v45, v47, v45
	v_sub_f32_e32 v136, v132, v131
	v_dual_sub_f32 v130, v130, v47 :: v_dual_sub_f32 v131, v131, v129
	v_dual_sub_f32 v132, v129, v132 :: v_dual_add_f32 v137, v32, v27
	v_dual_add_f32 v138, v33, v34 :: v_dual_sub_f32 v139, v32, v27
	v_sub_f32_e32 v140, v33, v34
	v_dual_sub_f32 v32, v26, v32 :: v_dual_add_f32 v37, v29, v46
	v_dual_sub_f32 v27, v27, v26 :: v_dual_add_f32 v36, v28, v43
	v_dual_sub_f32 v33, v35, v33 :: v_dual_sub_f32 v34, v34, v35
	v_dual_fmamk_f32 v28, v39, 0x3d64c772, v85 :: v_dual_add_f32 v35, v138, v35
	v_fmamk_f32 v29, v42, 0x3d64c772, v86
	v_fma_f32 v39, 0x3f3bfb3b, v89, -v90
	v_fma_f32 v42, 0x3f3bfb3b, v122, -v124
	;; [unrolled: 1-line block ×4, first 2 shown]
	v_fmamk_f32 v89, v44, 0x3eae86e6, v126
	v_fma_f32 v31, 0x3f5ff5aa, v31, -v125
	v_fma_f32 v122, 0x3f5ff5aa, v41, -v126
	;; [unrolled: 1-line block ×3, first 2 shown]
	v_dual_add_f32 v41, v129, v134 :: v_dual_fmamk_f32 v90, v40, 0x3eae86e6, v125
	v_fma_f32 v125, 0xbeae86e6, v44, -v128
	v_dual_add_f32 v40, v47, v133 :: v_dual_mul_f32 v47, 0x3f4a47b2, v131
	v_dual_add_f32 v26, v137, v26 :: v_dual_mul_f32 v127, 0x3d64c772, v132
	v_dual_mul_f32 v128, 0xbf08b237, v139 :: v_dual_mul_f32 v129, 0xbf08b237, v140
	v_dual_fmamk_f32 v43, v43, 0xbf955555, v36 :: v_dual_fmamk_f32 v46, v46, 0xbf955555, v37
	v_mul_f32_e32 v44, 0x3f4a47b2, v130
	v_mul_f32_e32 v126, 0x3d64c772, v45
	v_dual_mul_f32 v130, 0x3f5ff5aa, v27 :: v_dual_mul_f32 v131, 0x3f5ff5aa, v34
	v_dual_fmac_f32 v89, 0x3ee1c552, v38 :: v_dual_add_f32 v24, v24, v40
	v_add_f32_e32 v25, v25, v41
	s_delay_alu instid0(VALU_DEP_4)
	v_fma_f32 v126, 0x3f3bfb3b, v135, -v126
	v_fma_f32 v127, 0x3f3bfb3b, v136, -v127
	;; [unrolled: 1-line block ×4, first 2 shown]
	v_dual_fmamk_f32 v135, v32, 0x3eae86e6, v128 :: v_dual_fmamk_f32 v136, v33, 0x3eae86e6, v129
	v_fmac_f32_e32 v31, 0x3ee1c552, v30
	v_fma_f32 v34, 0x3f5ff5aa, v34, -v129
	v_fma_f32 v129, 0xbeae86e6, v32, -v130
	v_add_f32_e32 v32, v42, v46
	v_fmac_f32_e32 v90, 0x3ee1c552, v30
	s_delay_alu instid0(VALU_DEP_4)
	v_dual_fmac_f32 v125, 0x3ee1c552, v38 :: v_dual_fmac_f32 v34, 0x3ee1c552, v35
	v_fma_f32 v128, 0x3f5ff5aa, v27, -v128
	v_fma_f32 v130, 0xbeae86e6, v33, -v131
	v_add_f32_e32 v27, v28, v43
	v_fmamk_f32 v132, v132, 0x3d64c772, v47
	v_dual_add_f32 v28, v29, v46 :: v_dual_add_f32 v29, v39, v43
	v_add_f32_e32 v33, v85, v43
	v_fmamk_f32 v85, v40, 0xbf955555, v24
	v_dual_add_f32 v47, v86, v46 :: v_dual_fmamk_f32 v86, v41, 0xbf955555, v25
	s_delay_alu instid0(VALU_DEP_4)
	v_dual_sub_f32 v39, v28, v90 :: v_dual_fmac_f32 v136, 0x3ee1c552, v35
	v_dual_fmac_f32 v124, 0x3ee1c552, v30 :: v_dual_add_f32 v43, v31, v32
	v_fmac_f32_e32 v122, 0x3ee1c552, v38
	v_fmamk_f32 v30, v45, 0x3d64c772, v44
	v_dual_fmac_f32 v135, 0x3ee1c552, v26 :: v_dual_fmac_f32 v130, 0x3ee1c552, v35
	v_dual_fmac_f32 v129, 0x3ee1c552, v26 :: v_dual_add_f32 v38, v89, v27
	v_dual_add_f32 v40, v125, v33 :: v_dual_sub_f32 v41, v47, v124
	v_dual_add_f32 v44, v122, v29 :: v_dual_add_f32 v47, v124, v47
	v_dual_fmac_f32 v128, 0x3ee1c552, v26 :: v_dual_sub_f32 v45, v32, v31
	v_dual_sub_f32 v89, v27, v89 :: v_dual_add_f32 v90, v90, v28
	v_dual_add_f32 v35, v133, v85 :: v_dual_add_f32 v124, v132, v86
	v_sub_f32_e32 v42, v29, v122
	v_add_f32_e32 v122, v30, v85
	v_sub_f32_e32 v46, v33, v125
	v_add_f32_e32 v32, v126, v85
	v_add_f32_e32 v85, v134, v86
	v_dual_add_f32 v33, v127, v86 :: v_dual_add_f32 v28, v130, v35
	s_delay_alu instid0(VALU_DEP_2) | instskip(NEXT) | instid1(VALU_DEP_2)
	v_dual_sub_f32 v30, v32, v34 :: v_dual_sub_f32 v29, v85, v129
	v_add_f32_e32 v31, v128, v33
	v_dual_sub_f32 v27, v124, v135 :: v_dual_add_f32 v32, v34, v32
	v_dual_sub_f32 v33, v33, v128 :: v_dual_add_f32 v26, v136, v122
	;; [unrolled: 1-line block ×3, first 2 shown]
	v_sub_f32_e32 v85, v122, v136
	v_add_f32_e32 v86, v135, v124
	ds_store_2addr_stride64_b64 v92, v[36:37], v[38:39] offset1:2
	ds_store_2addr_stride64_b64 v92, v[40:41], v[42:43] offset0:4 offset1:6
	ds_store_2addr_stride64_b64 v92, v[44:45], v[46:47] offset0:8 offset1:10
	ds_store_b64 v92, v[89:90] offset:6144
	s_and_saveexec_b32 s2, vcc_lo
	s_cbranch_execz .LBB0_5
; %bb.4:
	v_add_nc_u32_e32 v36, 0x180, v92
	ds_store_2addr_b64 v92, v[24:25], v[26:27] offset0:112 offset1:240
	ds_store_2addr_stride64_b64 v36, v[28:29], v[30:31] offset0:5 offset1:7
	ds_store_2addr_stride64_b64 v36, v[32:33], v[34:35] offset0:9 offset1:11
	ds_store_b64 v92, v[85:86] offset:7040
.LBB0_5:
	s_wait_alu 0xfffe
	s_or_b32 exec_lo, exec_lo, s2
	global_wb scope:SCOPE_SE
	s_wait_dscnt 0x0
	s_barrier_signal -1
	s_barrier_wait -1
	global_inv scope:SCOPE_SE
	global_load_b64 v[24:25], v[87:88], off offset:7168
	v_lshlrev_b32_e32 v36, 3, v91
	s_add_nc_u64 s[2:3], s[8:9], 0x1c00
	s_clause 0x6
	global_load_b64 v[124:125], v36, s[2:3] offset:896
	global_load_b64 v[126:127], v36, s[2:3] offset:3584
	;; [unrolled: 1-line block ×7, first 2 shown]
	ds_load_2addr_b64 v[36:39], v92 offset1:112
	s_wait_loadcnt_dscnt 0x600
	v_dual_mul_f32 v139, v38, v125 :: v_dual_add_nc_u32 v122, 0x1000, v92
	v_mul_f32_e32 v40, v37, v25
	v_mul_f32_e32 v41, v36, v25
	v_add_nc_u32_e32 v25, 0x1400, v92
	s_delay_alu instid0(VALU_DEP_3) | instskip(SKIP_1) | instid1(VALU_DEP_4)
	v_fma_f32 v40, v36, v24, -v40
	v_add_nc_u32_e32 v36, 0xc00, v92
	v_fmac_f32_e32 v41, v37, v24
	v_dual_mul_f32 v37, v39, v125 :: v_dual_add_nc_u32 v24, 0x400, v92
	ds_store_b64 v92, v[40:41]
	ds_load_2addr_b64 v[40:43], v36 offset0:64 offset1:176
	ds_load_2addr_b64 v[44:47], v24 offset0:96 offset1:208
	;; [unrolled: 1-line block ×3, first 2 shown]
	v_add_nc_u32_e32 v140, 0x800, v92
	v_fma_f32 v138, v38, v124, -v37
	s_wait_loadcnt_dscnt 0x502
	v_dual_fmac_f32 v139, v39, v124 :: v_dual_mul_f32 v38, v40, v127
	v_mul_f32_e32 v37, v41, v127
	s_wait_loadcnt_dscnt 0x200
	v_dual_mul_f32 v141, v45, v131 :: v_dual_mul_f32 v142, v88, v133
	v_mul_f32_e32 v127, v44, v131
	v_dual_mul_f32 v39, v43, v129 :: v_dual_fmac_f32 v38, v41, v126
	v_mul_f32_e32 v125, v42, v129
	v_mul_f32_e32 v129, v87, v133
	s_wait_loadcnt 0x1
	v_mul_f32_e32 v143, v47, v135
	v_mul_f32_e32 v131, v46, v135
	s_wait_loadcnt 0x0
	v_mul_f32_e32 v135, v90, v137
	v_mul_f32_e32 v133, v89, v137
	v_fma_f32 v37, v40, v126, -v37
	v_fma_f32 v126, v44, v130, -v141
	v_fmac_f32_e32 v127, v45, v130
	v_fma_f32 v124, v42, v128, -v39
	v_fmac_f32_e32 v125, v43, v128
	;; [unrolled: 2-line block ×5, first 2 shown]
	ds_store_2addr_b64 v92, v[138:139], v[126:127] offset0:112 offset1:224
	ds_store_2addr_b64 v122, v[124:125], v[128:129] offset0:48 offset1:160
	;; [unrolled: 1-line block ×3, first 2 shown]
	ds_store_b64 v92, v[132:133] offset:6272
	global_wb scope:SCOPE_SE
	s_wait_dscnt 0x0
	s_barrier_signal -1
	s_barrier_wait -1
	global_inv scope:SCOPE_SE
	ds_load_2addr_b64 v[37:40], v92 offset1:112
	ds_load_2addr_b64 v[41:44], v36 offset0:64 offset1:176
	ds_load_2addr_b64 v[87:90], v24 offset0:96 offset1:208
	ds_load_2addr_b64 v[124:127], v25 offset0:32 offset1:144
	global_wb scope:SCOPE_SE
	s_wait_dscnt 0x0
	s_barrier_signal -1
	s_barrier_wait -1
	global_inv scope:SCOPE_SE
	v_dual_sub_f32 v45, v37, v41 :: v_dual_sub_f32 v46, v38, v42
	v_dual_sub_f32 v41, v39, v43 :: v_dual_sub_f32 v42, v40, v44
	;; [unrolled: 1-line block ×4, first 2 shown]
	s_delay_alu instid0(VALU_DEP_4)
	v_fma_f32 v43, v37, 2.0, -v45
	v_fma_f32 v44, v38, 2.0, -v46
	v_fma_f32 v39, v39, 2.0, -v41
	v_fma_f32 v40, v40, 2.0, -v42
	v_fma_f32 v126, v87, 2.0, -v128
	v_fma_f32 v127, v88, 2.0, -v129
	v_fma_f32 v130, v89, 2.0, -v132
	v_fma_f32 v131, v90, 2.0, -v133
	ds_store_b128 v94, v[43:46]
	ds_store_b128 v93, v[39:42]
	;; [unrolled: 1-line block ×4, first 2 shown]
	global_wb scope:SCOPE_SE
	s_wait_dscnt 0x0
	s_barrier_signal -1
	s_barrier_wait -1
	global_inv scope:SCOPE_SE
	ds_load_2addr_b64 v[37:40], v36 offset0:64 offset1:176
	ds_load_2addr_b64 v[41:44], v25 offset0:32 offset1:144
	ds_load_2addr_b64 v[87:90], v92 offset1:112
	ds_load_2addr_b64 v[121:124], v24 offset0:96 offset1:208
	global_wb scope:SCOPE_SE
	s_wait_dscnt 0x0
	s_barrier_signal -1
	s_barrier_wait -1
	global_inv scope:SCOPE_SE
	v_mul_f32_e32 v45, v66, v38
	v_mul_f32_e32 v46, v66, v37
	;; [unrolled: 1-line block ×7, first 2 shown]
	v_dual_mul_f32 v66, v66, v43 :: v_dual_fmac_f32 v45, v65, v37
	v_fma_f32 v38, v65, v38, -v46
	v_fmac_f32_e32 v47, v65, v39
	v_fma_f32 v40, v65, v40, -v93
	v_fmac_f32_e32 v94, v65, v41
	;; [unrolled: 2-line block ×3, first 2 shown]
	v_fma_f32 v44, v65, v44, -v66
	v_dual_sub_f32 v37, v87, v45 :: v_dual_sub_f32 v38, v88, v38
	v_dual_sub_f32 v39, v89, v47 :: v_dual_sub_f32 v40, v90, v40
	v_sub_f32_e32 v41, v121, v94
	v_sub_f32_e32 v42, v122, v42
	v_dual_sub_f32 v43, v123, v126 :: v_dual_sub_f32 v44, v124, v44
	v_fma_f32 v45, v87, 2.0, -v37
	v_fma_f32 v46, v88, 2.0, -v38
	;; [unrolled: 1-line block ×8, first 2 shown]
	ds_store_2addr_b64 v98, v[45:46], v[37:38] offset1:2
	ds_store_2addr_b64 v97, v[65:66], v[39:40] offset1:2
	ds_store_2addr_b64 v96, v[87:88], v[41:42] offset1:2
	ds_store_2addr_b64 v95, v[89:90], v[43:44] offset1:2
	global_wb scope:SCOPE_SE
	s_wait_dscnt 0x0
	s_barrier_signal -1
	s_barrier_wait -1
	global_inv scope:SCOPE_SE
	ds_load_2addr_b64 v[37:40], v36 offset0:64 offset1:176
	ds_load_2addr_b64 v[41:44], v25 offset0:32 offset1:144
	ds_load_2addr_b64 v[87:90], v92 offset1:112
	ds_load_2addr_b64 v[93:96], v24 offset0:96 offset1:208
	global_wb scope:SCOPE_SE
	s_wait_dscnt 0x0
	s_barrier_signal -1
	s_barrier_wait -1
	global_inv scope:SCOPE_SE
	v_mul_f32_e32 v45, v68, v38
	v_mul_f32_e32 v46, v68, v37
	;; [unrolled: 1-line block ×7, first 2 shown]
	v_dual_mul_f32 v68, v68, v43 :: v_dual_fmac_f32 v45, v67, v37
	v_fma_f32 v38, v67, v38, -v46
	v_fmac_f32_e32 v47, v67, v39
	v_fma_f32 v40, v67, v40, -v65
	v_fmac_f32_e32 v66, v67, v41
	;; [unrolled: 2-line block ×3, first 2 shown]
	v_fma_f32 v44, v67, v44, -v68
	v_dual_sub_f32 v37, v87, v45 :: v_dual_sub_f32 v38, v88, v38
	v_dual_sub_f32 v39, v89, v47 :: v_dual_sub_f32 v40, v90, v40
	v_sub_f32_e32 v41, v93, v66
	v_sub_f32_e32 v42, v94, v42
	v_dual_sub_f32 v43, v95, v98 :: v_dual_sub_f32 v44, v96, v44
	v_fma_f32 v45, v87, 2.0, -v37
	v_fma_f32 v46, v88, 2.0, -v38
	;; [unrolled: 1-line block ×8, first 2 shown]
	ds_store_2addr_b64 v102, v[45:46], v[37:38] offset1:4
	ds_store_2addr_b64 v101, v[65:66], v[39:40] offset1:4
	;; [unrolled: 1-line block ×4, first 2 shown]
	global_wb scope:SCOPE_SE
	s_wait_dscnt 0x0
	s_barrier_signal -1
	s_barrier_wait -1
	global_inv scope:SCOPE_SE
	ds_load_2addr_b64 v[37:40], v36 offset0:64 offset1:176
	ds_load_2addr_b64 v[41:44], v25 offset0:32 offset1:144
	ds_load_2addr_b64 v[65:68], v92 offset1:112
	ds_load_2addr_b64 v[87:90], v24 offset0:96 offset1:208
	global_wb scope:SCOPE_SE
	s_wait_dscnt 0x0
	s_barrier_signal -1
	s_barrier_wait -1
	global_inv scope:SCOPE_SE
	v_mul_f32_e32 v45, v70, v38
	v_mul_f32_e32 v46, v70, v37
	;; [unrolled: 1-line block ×7, first 2 shown]
	v_dual_mul_f32 v70, v70, v43 :: v_dual_fmac_f32 v45, v69, v37
	v_fma_f32 v38, v69, v38, -v46
	v_fmac_f32_e32 v47, v69, v39
	v_fma_f32 v40, v69, v40, -v93
	v_fmac_f32_e32 v94, v69, v41
	;; [unrolled: 2-line block ×3, first 2 shown]
	v_fma_f32 v44, v69, v44, -v70
	v_dual_sub_f32 v37, v65, v45 :: v_dual_sub_f32 v38, v66, v38
	v_dual_sub_f32 v39, v67, v47 :: v_dual_sub_f32 v40, v68, v40
	v_sub_f32_e32 v41, v87, v94
	v_dual_sub_f32 v42, v88, v42 :: v_dual_sub_f32 v43, v89, v96
	v_sub_f32_e32 v44, v90, v44
	v_fma_f32 v45, v65, 2.0, -v37
	v_fma_f32 v46, v66, 2.0, -v38
	;; [unrolled: 1-line block ×8, first 2 shown]
	ds_store_2addr_b64 v106, v[45:46], v[37:38] offset1:8
	ds_store_2addr_b64 v105, v[65:66], v[39:40] offset1:8
	ds_store_2addr_b64 v104, v[67:68], v[41:42] offset1:8
	ds_store_2addr_b64 v103, v[69:70], v[43:44] offset1:8
	global_wb scope:SCOPE_SE
	s_wait_dscnt 0x0
	s_barrier_signal -1
	s_barrier_wait -1
	global_inv scope:SCOPE_SE
	ds_load_2addr_b64 v[37:40], v36 offset0:64 offset1:176
	ds_load_2addr_b64 v[41:44], v25 offset0:32 offset1:144
	ds_load_2addr_b64 v[65:68], v92 offset1:112
	ds_load_2addr_b64 v[87:90], v24 offset0:96 offset1:208
	global_wb scope:SCOPE_SE
	s_wait_dscnt 0x0
	s_barrier_signal -1
	s_barrier_wait -1
	global_inv scope:SCOPE_SE
	v_mul_f32_e32 v45, v72, v38
	v_mul_f32_e32 v46, v72, v37
	;; [unrolled: 1-line block ×7, first 2 shown]
	v_dual_mul_f32 v72, v72, v43 :: v_dual_fmac_f32 v45, v71, v37
	v_fma_f32 v38, v71, v38, -v46
	v_fmac_f32_e32 v47, v71, v39
	v_fma_f32 v40, v71, v40, -v69
	v_fmac_f32_e32 v70, v71, v41
	v_fma_f32 v42, v71, v42, -v93
	v_fmac_f32_e32 v94, v71, v43
	v_fma_f32 v44, v71, v44, -v72
	v_dual_sub_f32 v37, v65, v45 :: v_dual_sub_f32 v38, v66, v38
	v_dual_sub_f32 v39, v67, v47 :: v_dual_sub_f32 v40, v68, v40
	v_sub_f32_e32 v41, v87, v70
	v_sub_f32_e32 v42, v88, v42
	v_dual_sub_f32 v43, v89, v94 :: v_dual_sub_f32 v44, v90, v44
	v_fma_f32 v45, v65, 2.0, -v37
	v_fma_f32 v46, v66, 2.0, -v38
	;; [unrolled: 1-line block ×8, first 2 shown]
	ds_store_2addr_b64 v112, v[45:46], v[37:38] offset1:16
	ds_store_2addr_b64 v111, v[65:66], v[39:40] offset1:16
	ds_store_2addr_b64 v110, v[67:68], v[41:42] offset1:16
	ds_store_2addr_b64 v109, v[69:70], v[43:44] offset1:16
	global_wb scope:SCOPE_SE
	s_wait_dscnt 0x0
	s_barrier_signal -1
	s_barrier_wait -1
	global_inv scope:SCOPE_SE
	ds_load_2addr_b64 v[37:40], v36 offset0:64 offset1:176
	ds_load_2addr_b64 v[41:44], v25 offset0:32 offset1:144
	ds_load_2addr_b64 v[65:68], v92 offset1:112
	ds_load_2addr_b64 v[69:72], v24 offset0:96 offset1:208
	global_wb scope:SCOPE_SE
	s_wait_dscnt 0x0
	s_barrier_signal -1
	s_barrier_wait -1
	global_inv scope:SCOPE_SE
	v_mul_f32_e32 v45, v74, v38
	v_dual_mul_f32 v46, v74, v37 :: v_dual_mul_f32 v47, v76, v40
	v_dual_mul_f32 v76, v76, v39 :: v_dual_mul_f32 v87, v74, v42
	v_mul_f32_e32 v74, v74, v41
	v_mul_f32_e32 v88, v108, v44
	;; [unrolled: 1-line block ×3, first 2 shown]
	v_fmac_f32_e32 v45, v73, v37
	v_fma_f32 v38, v73, v38, -v46
	v_fmac_f32_e32 v47, v107, v39
	v_fma_f32 v40, v107, v40, -v76
	;; [unrolled: 2-line block ×4, first 2 shown]
	v_dual_sub_f32 v37, v65, v45 :: v_dual_sub_f32 v38, v66, v38
	v_dual_sub_f32 v39, v67, v47 :: v_dual_sub_f32 v40, v68, v40
	;; [unrolled: 1-line block ×3, first 2 shown]
	v_sub_f32_e32 v43, v71, v88
	v_sub_f32_e32 v44, v72, v44
	v_fma_f32 v45, v65, 2.0, -v37
	v_fma_f32 v46, v66, 2.0, -v38
	;; [unrolled: 1-line block ×8, first 2 shown]
	ds_store_2addr_b64 v113, v[45:46], v[37:38] offset1:32
	ds_store_2addr_b64 v116, v[65:66], v[39:40] offset1:32
	;; [unrolled: 1-line block ×4, first 2 shown]
	global_wb scope:SCOPE_SE
	s_wait_dscnt 0x0
	s_barrier_signal -1
	s_barrier_wait -1
	global_inv scope:SCOPE_SE
	ds_load_2addr_b64 v[36:39], v36 offset0:64 offset1:176
	ds_load_2addr_b64 v[40:43], v25 offset0:32 offset1:144
	ds_load_2addr_b64 v[44:47], v92 offset1:112
	ds_load_2addr_b64 v[65:68], v24 offset0:96 offset1:208
	global_wb scope:SCOPE_SE
	s_wait_dscnt 0x0
	s_barrier_signal -1
	s_barrier_wait -1
	global_inv scope:SCOPE_SE
	v_mul_f32_e32 v24, v82, v37
	v_mul_f32_e32 v25, v82, v36
	;; [unrolled: 1-line block ×5, first 2 shown]
	v_dual_mul_f32 v72, v80, v40 :: v_dual_mul_f32 v73, v78, v43
	v_mul_f32_e32 v74, v78, v42
	v_fmac_f32_e32 v24, v81, v36
	v_fma_f32 v25, v81, v37, -v25
	v_fmac_f32_e32 v69, v83, v38
	v_fma_f32 v39, v83, v39, -v70
	;; [unrolled: 2-line block ×4, first 2 shown]
	v_dual_sub_f32 v36, v44, v24 :: v_dual_sub_f32 v37, v45, v25
	v_sub_f32_e32 v38, v46, v69
	s_delay_alu instid0(VALU_DEP_4)
	v_sub_f32_e32 v24, v67, v73
	v_sub_f32_e32 v39, v47, v39
	v_dual_sub_f32 v40, v65, v71 :: v_dual_sub_f32 v41, v66, v41
	v_sub_f32_e32 v25, v68, v42
	v_fma_f32 v42, v44, 2.0, -v36
	v_fma_f32 v43, v45, 2.0, -v37
	;; [unrolled: 1-line block ×8, first 2 shown]
	ds_store_2addr_stride64_b64 v120, v[42:43], v[36:37] offset1:1
	ds_store_2addr_stride64_b64 v119, v[44:45], v[38:39] offset1:1
	;; [unrolled: 1-line block ×4, first 2 shown]
	global_wb scope:SCOPE_SE
	s_wait_dscnt 0x0
	s_barrier_signal -1
	s_barrier_wait -1
	global_inv scope:SCOPE_SE
	ds_load_2addr_stride64_b64 v[36:39], v92 offset1:2
	ds_load_2addr_stride64_b64 v[44:47], v92 offset0:4 offset1:6
	ds_load_2addr_stride64_b64 v[40:43], v92 offset0:8 offset1:10
	ds_load_b64 v[65:66], v92 offset:6144
	s_and_saveexec_b32 s2, vcc_lo
	s_cbranch_execz .LBB0_7
; %bb.6:
	v_add_nc_u32_e32 v32, 0x180, v92
	ds_load_2addr_b64 v[24:27], v92 offset0:112 offset1:240
	ds_load_2addr_stride64_b64 v[28:31], v32 offset0:5 offset1:7
	ds_load_2addr_stride64_b64 v[32:35], v32 offset0:9 offset1:11
	ds_load_b64 v[85:86], v92 offset:7040
.LBB0_7:
	s_wait_alu 0xfffe
	s_or_b32 exec_lo, exec_lo, s2
	s_wait_dscnt 0x2
	v_dual_mul_f32 v67, v21, v39 :: v_dual_mul_f32 v68, v23, v45
	v_mul_f32_e32 v21, v21, v38
	s_delay_alu instid0(VALU_DEP_2) | instskip(SKIP_2) | instid1(VALU_DEP_3)
	v_dual_fmac_f32 v67, v20, v38 :: v_dual_fmac_f32 v68, v22, v44
	s_wait_dscnt 0x1
	v_mul_f32_e32 v38, v19, v41
	v_fma_f32 v20, v20, v39, -v21
	v_mul_f32_e32 v21, v17, v47
	s_delay_alu instid0(VALU_DEP_3) | instskip(NEXT) | instid1(VALU_DEP_2)
	v_dual_mul_f32 v17, v17, v46 :: v_dual_fmac_f32 v38, v18, v40
	v_fmac_f32_e32 v21, v16, v46
	s_delay_alu instid0(VALU_DEP_2) | instskip(SKIP_4) | instid1(VALU_DEP_3)
	v_fma_f32 v16, v16, v47, -v17
	s_wait_dscnt 0x0
	v_mul_f32_e32 v17, v15, v66
	v_mul_f32_e32 v15, v15, v65
	;; [unrolled: 1-line block ×3, first 2 shown]
	v_fmac_f32_e32 v17, v14, v65
	s_delay_alu instid0(VALU_DEP_3) | instskip(SKIP_1) | instid1(VALU_DEP_4)
	v_fma_f32 v14, v14, v66, -v15
	v_mul_f32_e32 v23, v23, v44
	v_fma_f32 v15, v18, v41, -v19
	s_delay_alu instid0(VALU_DEP_3) | instskip(NEXT) | instid1(VALU_DEP_3)
	v_add_f32_e32 v18, v20, v14
	v_fma_f32 v22, v22, v45, -v23
	v_dual_mul_f32 v23, v13, v43 :: v_dual_sub_f32 v14, v20, v14
	s_delay_alu instid0(VALU_DEP_4) | instskip(SKIP_1) | instid1(VALU_DEP_3)
	v_add_f32_e32 v39, v16, v15
	v_mul_f32_e32 v13, v13, v42
	v_fmac_f32_e32 v23, v12, v42
	s_delay_alu instid0(VALU_DEP_2) | instskip(NEXT) | instid1(VALU_DEP_1)
	v_fma_f32 v12, v12, v43, -v13
	v_add_f32_e32 v20, v22, v12
	v_sub_f32_e32 v12, v22, v12
	s_delay_alu instid0(VALU_DEP_4) | instskip(NEXT) | instid1(VALU_DEP_3)
	v_dual_add_f32 v22, v21, v38 :: v_dual_add_f32 v19, v68, v23
	v_dual_sub_f32 v21, v38, v21 :: v_dual_add_f32 v38, v20, v18
	v_add_f32_e32 v13, v67, v17
	s_delay_alu instid0(VALU_DEP_1) | instskip(NEXT) | instid1(VALU_DEP_1)
	v_dual_sub_f32 v40, v19, v13 :: v_dual_sub_f32 v23, v68, v23
	v_dual_sub_f32 v44, v21, v23 :: v_dual_sub_f32 v17, v67, v17
	;; [unrolled: 1-line block ×3, first 2 shown]
	v_dual_add_f32 v16, v19, v13 :: v_dual_sub_f32 v41, v20, v18
	s_delay_alu instid0(VALU_DEP_2) | instskip(NEXT) | instid1(VALU_DEP_2)
	v_add_f32_e32 v43, v15, v12
	v_add_f32_e32 v16, v22, v16
	v_sub_f32_e32 v19, v22, v19
	v_sub_f32_e32 v45, v15, v12
	v_add_f32_e32 v22, v39, v38
	v_sub_f32_e32 v38, v12, v14
	v_add_f32_e32 v12, v36, v16
	v_dual_mul_f32 v36, 0x3f4a47b2, v42 :: v_dual_sub_f32 v15, v14, v15
	v_add_f32_e32 v14, v43, v14
	v_sub_f32_e32 v18, v18, v39
	s_delay_alu instid0(VALU_DEP_4) | instskip(SKIP_2) | instid1(VALU_DEP_4)
	v_fmamk_f32 v16, v16, 0xbf955555, v12
	v_dual_mul_f32 v43, 0x3f08b237, v45 :: v_dual_sub_f32 v20, v39, v20
	v_mul_f32_e32 v45, 0xbf5ff5aa, v38
	v_dual_add_f32 v13, v21, v23 :: v_dual_mul_f32 v18, 0x3f4a47b2, v18
	s_delay_alu instid0(VALU_DEP_3) | instskip(SKIP_2) | instid1(VALU_DEP_3)
	v_fma_f32 v38, 0xbf5ff5aa, v38, -v43
	v_dual_mul_f32 v42, 0x3f08b237, v44 :: v_dual_sub_f32 v21, v17, v21
	v_sub_f32_e32 v23, v23, v17
	v_dual_add_f32 v17, v13, v17 :: v_dual_fmac_f32 v38, 0xbee1c552, v14
	v_dual_mul_f32 v39, 0x3d64c772, v20 :: v_dual_fmamk_f32 v20, v20, 0x3d64c772, v18
	v_fma_f32 v18, 0xbf3bfb3b, v41, -v18
	v_add_f32_e32 v13, v37, v22
	s_delay_alu instid0(VALU_DEP_3) | instskip(SKIP_2) | instid1(VALU_DEP_2)
	v_fma_f32 v39, 0x3f3bfb3b, v41, -v39
	v_fmamk_f32 v41, v15, 0xbeae86e6, v43
	v_fma_f32 v43, 0x3eae86e6, v15, -v45
	v_fmac_f32_e32 v41, 0xbee1c552, v14
	v_mul_f32_e32 v37, 0x3d64c772, v19
	v_fmamk_f32 v19, v19, 0x3d64c772, v36
	v_fma_f32 v36, 0xbf3bfb3b, v40, -v36
	v_fmac_f32_e32 v43, 0xbee1c552, v14
	s_delay_alu instid0(VALU_DEP_4) | instskip(NEXT) | instid1(VALU_DEP_3)
	v_fma_f32 v37, 0x3f3bfb3b, v40, -v37
	v_add_f32_e32 v36, v36, v16
	v_fmamk_f32 v22, v22, 0xbf955555, v13
	v_fmamk_f32 v40, v21, 0xbeae86e6, v42
	v_mul_f32_e32 v44, 0xbf5ff5aa, v23
	v_fma_f32 v23, 0xbf5ff5aa, v23, -v42
	s_delay_alu instid0(VALU_DEP_4) | instskip(NEXT) | instid1(VALU_DEP_3)
	v_dual_add_f32 v45, v20, v22 :: v_dual_add_f32 v20, v37, v16
	v_fma_f32 v42, 0x3eae86e6, v21, -v44
	v_add_f32_e32 v37, v18, v22
	s_delay_alu instid0(VALU_DEP_3) | instskip(SKIP_4) | instid1(VALU_DEP_3)
	v_sub_f32_e32 v18, v20, v38
	v_add_f32_e32 v20, v38, v20
	v_add_f32_e32 v44, v19, v16
	v_dual_fmac_f32 v40, 0xbee1c552, v17 :: v_dual_add_f32 v21, v39, v22
	v_fmac_f32_e32 v42, 0xbee1c552, v17
	v_dual_fmac_f32 v23, 0xbee1c552, v17 :: v_dual_add_f32 v14, v41, v44
	s_delay_alu instid0(VALU_DEP_3) | instskip(SKIP_1) | instid1(VALU_DEP_3)
	v_sub_f32_e32 v15, v45, v40
	v_add_f32_e32 v16, v43, v36
	v_dual_sub_f32 v22, v36, v43 :: v_dual_add_f32 v19, v23, v21
	v_dual_sub_f32 v36, v44, v41 :: v_dual_sub_f32 v17, v37, v42
	v_sub_f32_e32 v21, v21, v23
	v_add_f32_e32 v23, v42, v37
	v_add_f32_e32 v37, v40, v45
	ds_store_2addr_stride64_b64 v92, v[12:13], v[14:15] offset1:2
	ds_store_2addr_stride64_b64 v92, v[16:17], v[18:19] offset0:4 offset1:6
	ds_store_2addr_stride64_b64 v92, v[20:21], v[22:23] offset0:8 offset1:10
	ds_store_b64 v92, v[36:37] offset:6144
	s_and_saveexec_b32 s2, vcc_lo
	s_cbranch_execz .LBB0_9
; %bb.8:
	v_dual_mul_f32 v12, v5, v27 :: v_dual_mul_f32 v13, v3, v33
	v_dual_mul_f32 v14, v1, v31 :: v_dual_mul_f32 v15, v7, v29
	;; [unrolled: 1-line block ×3, first 2 shown]
	s_delay_alu instid0(VALU_DEP_2) | instskip(NEXT) | instid1(VALU_DEP_2)
	v_dual_fmac_f32 v13, v2, v32 :: v_dual_fmac_f32 v14, v0, v30
	v_dual_fmac_f32 v15, v6, v28 :: v_dual_fmac_f32 v16, v8, v34
	s_delay_alu instid0(VALU_DEP_3) | instskip(NEXT) | instid1(VALU_DEP_3)
	v_dual_fmac_f32 v12, v4, v26 :: v_dual_fmac_f32 v17, v10, v85
	v_dual_sub_f32 v18, v13, v14 :: v_dual_mul_f32 v3, v3, v32
	s_delay_alu instid0(VALU_DEP_3) | instskip(SKIP_1) | instid1(VALU_DEP_4)
	v_sub_f32_e32 v19, v15, v16
	v_add_f32_e32 v15, v16, v15
	v_sub_f32_e32 v20, v12, v17
	v_add_f32_e32 v13, v14, v13
	v_fma_f32 v2, v2, v33, -v3
	v_dual_sub_f32 v21, v18, v19 :: v_dual_add_f32 v12, v17, v12
	v_mul_f32_e32 v1, v1, v30
	s_delay_alu instid0(VALU_DEP_2) | instskip(NEXT) | instid1(VALU_DEP_3)
	v_mul_f32_e32 v21, 0x3f08b237, v21
	v_dual_mul_f32 v5, v5, v26 :: v_dual_add_f32 v14, v15, v12
	s_delay_alu instid0(VALU_DEP_3) | instskip(NEXT) | instid1(VALU_DEP_2)
	v_fma_f32 v0, v0, v31, -v1
	v_fma_f32 v4, v4, v27, -v5
	v_mul_f32_e32 v11, v11, v85
	s_delay_alu instid0(VALU_DEP_3) | instskip(SKIP_4) | instid1(VALU_DEP_4)
	v_add_f32_e32 v1, v0, v2
	v_mul_f32_e32 v9, v9, v34
	v_mul_f32_e32 v7, v7, v28
	v_sub_f32_e32 v2, v2, v0
	v_fma_f32 v10, v10, v86, -v11
	v_fma_f32 v5, v8, v35, -v9
	s_delay_alu instid0(VALU_DEP_4) | instskip(NEXT) | instid1(VALU_DEP_3)
	v_fma_f32 v6, v6, v29, -v7
	v_add_f32_e32 v8, v10, v4
	v_sub_f32_e32 v4, v4, v10
	s_delay_alu instid0(VALU_DEP_3) | instskip(SKIP_1) | instid1(VALU_DEP_1)
	v_add_f32_e32 v9, v5, v6
	v_sub_f32_e32 v5, v6, v5
	v_dual_add_f32 v3, v9, v8 :: v_dual_sub_f32 v10, v2, v5
	v_sub_f32_e32 v22, v8, v1
	v_dual_sub_f32 v16, v1, v9 :: v_dual_add_f32 v7, v18, v19
	v_sub_f32_e32 v19, v19, v20
	s_delay_alu instid0(VALU_DEP_3) | instskip(NEXT) | instid1(VALU_DEP_3)
	v_dual_sub_f32 v8, v9, v8 :: v_dual_mul_f32 v17, 0x3f4a47b2, v22
	v_mul_f32_e32 v22, 0x3d64c772, v16
	v_mul_f32_e32 v10, 0x3f08b237, v10
	s_delay_alu instid0(VALU_DEP_4) | instskip(NEXT) | instid1(VALU_DEP_4)
	v_mul_f32_e32 v26, 0xbf5ff5aa, v19
	v_dual_fmamk_f32 v16, v16, 0x3d64c772, v17 :: v_dual_add_f32 v3, v1, v3
	s_delay_alu instid0(VALU_DEP_1) | instskip(NEXT) | instid1(VALU_DEP_1)
	v_add_f32_e32 v1, v25, v3
	v_fmamk_f32 v25, v3, 0xbf955555, v1
	s_delay_alu instid0(VALU_DEP_1) | instskip(NEXT) | instid1(VALU_DEP_1)
	v_dual_add_f32 v3, v13, v14 :: v_dual_add_f32 v14, v16, v25
	v_add_f32_e32 v0, v24, v3
	v_sub_f32_e32 v24, v4, v2
	v_sub_f32_e32 v23, v12, v13
	v_add_f32_e32 v7, v7, v20
	v_dual_sub_f32 v13, v13, v15 :: v_dual_add_f32 v2, v2, v5
	s_delay_alu instid0(VALU_DEP_3) | instskip(SKIP_1) | instid1(VALU_DEP_3)
	v_dual_mul_f32 v6, 0x3f4a47b2, v23 :: v_dual_sub_f32 v11, v20, v18
	v_fmamk_f32 v20, v24, 0xbeae86e6, v10
	v_dual_fmamk_f32 v23, v3, 0xbf955555, v0 :: v_dual_add_f32 v2, v2, v4
	s_delay_alu instid0(VALU_DEP_3) | instskip(NEXT) | instid1(VALU_DEP_4)
	v_fmamk_f32 v16, v13, 0x3d64c772, v6
	v_dual_fmamk_f32 v18, v11, 0xbeae86e6, v21 :: v_dual_sub_f32 v5, v5, v4
	v_fma_f32 v4, 0xbf3bfb3b, v8, -v17
	s_delay_alu instid0(VALU_DEP_3) | instskip(NEXT) | instid1(VALU_DEP_3)
	v_dual_sub_f32 v9, v15, v12 :: v_dual_add_f32 v16, v16, v23
	v_fmac_f32_e32 v18, 0xbee1c552, v7
	s_delay_alu instid0(VALU_DEP_3) | instskip(SKIP_3) | instid1(VALU_DEP_2)
	v_dual_fmac_f32 v20, 0xbee1c552, v2 :: v_dual_add_f32 v15, v4, v25
	v_fma_f32 v4, 0x3f3bfb3b, v8, -v22
	v_fma_f32 v8, 0xbf5ff5aa, v19, -v21
	;; [unrolled: 1-line block ×3, first 2 shown]
	v_dual_fmac_f32 v8, 0xbee1c552, v7 :: v_dual_add_f32 v3, v18, v14
	v_mul_f32_e32 v12, 0xbf5ff5aa, v5
	v_fma_f32 v17, 0xbf5ff5aa, v5, -v10
	s_delay_alu instid0(VALU_DEP_2) | instskip(NEXT) | instid1(VALU_DEP_2)
	v_fma_f32 v12, 0x3eae86e6, v24, -v12
	v_fmac_f32_e32 v17, 0xbee1c552, v2
	s_delay_alu instid0(VALU_DEP_2) | instskip(SKIP_1) | instid1(VALU_DEP_1)
	v_fmac_f32_e32 v12, 0xbee1c552, v2
	v_fma_f32 v6, 0xbf3bfb3b, v9, -v6
	v_dual_mul_f32 v13, 0x3d64c772, v13 :: v_dual_add_f32 v6, v6, v23
	s_delay_alu instid0(VALU_DEP_1)
	v_fma_f32 v5, 0x3f3bfb3b, v9, -v13
	v_add_f32_e32 v9, v4, v25
	v_fmac_f32_e32 v11, 0xbee1c552, v7
	v_sub_f32_e32 v13, v14, v18
	v_sub_f32_e32 v4, v6, v12
	v_add_f32_e32 v2, v5, v23
	v_add_f32_e32 v10, v12, v6
	;; [unrolled: 1-line block ×3, first 2 shown]
	v_add_nc_u32_e32 v14, 0x180, v92
	v_sub_f32_e32 v7, v9, v8
	v_add_f32_e32 v5, v11, v15
	v_dual_add_f32 v9, v8, v9 :: v_dual_add_f32 v6, v17, v2
	v_dual_sub_f32 v8, v2, v17 :: v_dual_sub_f32 v11, v15, v11
	v_sub_f32_e32 v2, v16, v20
	ds_store_2addr_b64 v92, v[0:1], v[12:13] offset0:112 offset1:240
	ds_store_2addr_stride64_b64 v14, v[10:11], v[8:9] offset0:5 offset1:7
	ds_store_2addr_stride64_b64 v14, v[6:7], v[4:5] offset0:9 offset1:11
	ds_store_b64 v92, v[2:3] offset:7040
.LBB0_9:
	s_wait_alu 0xfffe
	s_or_b32 exec_lo, exec_lo, s2
	global_wb scope:SCOPE_SE
	s_wait_dscnt 0x0
	s_barrier_signal -1
	s_barrier_wait -1
	global_inv scope:SCOPE_SE
	ds_load_2addr_b64 v[0:3], v92 offset1:112
	v_add_nc_u32_e32 v4, 0xc00, v92
	v_add_nc_u32_e32 v12, 0x1400, v92
	v_mad_co_u64_u32 v[32:33], null, s6, v48, 0
	v_mad_co_u64_u32 v[34:35], null, s4, v91, 0
	s_mov_b32 s2, 0x92492492
	s_mov_b32 s3, 0x3f524924
	s_delay_alu instid0(VALU_DEP_1)
	v_mad_co_u64_u32 v[36:37], null, s7, v48, v[33:34]
	s_wait_dscnt 0x0
	v_mul_f32_e32 v19, v54, v2
	ds_load_2addr_b64 v[4:7], v4 offset0:64 offset1:176
	v_add_nc_u32_e32 v8, 0x400, v92
	v_mad_co_u64_u32 v[37:38], null, s5, v91, v[35:36]
	v_mul_f32_e32 v16, v52, v1
	v_dual_mul_f32 v17, v52, v0 :: v_dual_mul_f32 v18, v54, v3
	v_fma_f32 v19, v53, v3, -v19
	v_mov_b32_e32 v33, v36
	s_delay_alu instid0(VALU_DEP_3) | instskip(SKIP_2) | instid1(VALU_DEP_4)
	v_fma_f32 v17, v51, v1, -v17
	v_mov_b32_e32 v35, v37
	v_fmac_f32_e32 v18, v53, v2
	v_lshlrev_b64_e32 v[32:33], 3, v[32:33]
	s_delay_alu instid0(VALU_DEP_4) | instskip(NEXT) | instid1(VALU_DEP_4)
	v_cvt_f64_f32_e32 v[2:3], v17
	v_lshlrev_b64_e32 v[34:35], 3, v[34:35]
	s_delay_alu instid0(VALU_DEP_3)
	v_add_co_u32 v32, vcc_lo, s0, v32
	s_wait_dscnt 0x0
	v_mul_f32_e32 v23, v58, v6
	ds_load_2addr_b64 v[8:11], v8 offset0:96 offset1:208
	ds_load_2addr_b64 v[12:15], v12 offset0:32 offset1:144
	v_mul_f32_e32 v20, v60, v5
	v_dual_mul_f32 v21, v60, v4 :: v_dual_mul_f32 v22, v58, v7
	v_fmac_f32_e32 v16, v51, v0
	v_fma_f32 v23, v57, v7, -v23
	s_delay_alu instid0(VALU_DEP_4) | instskip(NEXT) | instid1(VALU_DEP_4)
	v_fmac_f32_e32 v20, v59, v4
	v_fma_f32 v21, v59, v5, -v21
	v_cvt_f64_f32_e32 v[4:5], v18
	s_wait_alu 0xfffd
	v_add_co_ci_u32_e32 v33, vcc_lo, s1, v33, vcc_lo
	s_movk_i32 s0, 0xf580
	s_mov_b32 s1, -1
	v_add_co_u32 v32, vcc_lo, v32, v34
	s_wait_alu 0xfffe
	s_mul_u64 s[0:1], s[4:5], s[0:1]
	s_wait_alu 0xfffd
	v_add_co_ci_u32_e32 v33, vcc_lo, v33, v35, vcc_lo
	s_wait_dscnt 0x1
	v_mul_f32_e32 v24, v56, v9
	s_wait_dscnt 0x0
	v_dual_mul_f32 v31, v64, v14 :: v_dual_mul_f32 v26, v50, v13
	v_dual_mul_f32 v25, v56, v8 :: v_dual_mul_f32 v28, v62, v11
	;; [unrolled: 1-line block ×3, first 2 shown]
	s_delay_alu instid0(VALU_DEP_3)
	v_fmac_f32_e32 v26, v49, v12
	v_mul_f32_e32 v12, v50, v12
	v_fmac_f32_e32 v22, v57, v6
	v_fmac_f32_e32 v24, v55, v8
	v_fma_f32 v25, v55, v9, -v25
	v_cvt_f64_f32_e32 v[0:1], v16
	v_fma_f32 v12, v49, v13, -v12
	v_cvt_f64_f32_e32 v[16:17], v19
	v_cvt_f64_f32_e32 v[6:7], v20
	;; [unrolled: 1-line block ×3, first 2 shown]
	v_fmac_f32_e32 v28, v61, v10
	v_fma_f32 v29, v61, v11, -v29
	v_fmac_f32_e32 v30, v63, v14
	v_fma_f32 v31, v63, v15, -v31
	v_cvt_f64_f32_e32 v[8:9], v22
	v_cvt_f64_f32_e32 v[20:21], v23
	;; [unrolled: 1-line block ×10, first 2 shown]
	v_mul_f64_e32 v[2:3], s[2:3], v[2:3]
	v_mul_f64_e32 v[4:5], s[2:3], v[4:5]
	;; [unrolled: 1-line block ×16, first 2 shown]
	s_mul_u64 s[2:3], s[4:5], 0xe00
	v_cvt_f32_f64_e32 v0, v[0:1]
	v_cvt_f32_f64_e32 v1, v[2:3]
	;; [unrolled: 1-line block ×16, first 2 shown]
	s_wait_alu 0xfffe
	v_add_co_u32 v14, vcc_lo, v32, s2
	s_wait_alu 0xfffd
	v_add_co_ci_u32_e32 v15, vcc_lo, s3, v33, vcc_lo
	s_delay_alu instid0(VALU_DEP_2) | instskip(SKIP_1) | instid1(VALU_DEP_2)
	v_add_co_u32 v18, vcc_lo, v14, s0
	s_wait_alu 0xfffd
	v_add_co_ci_u32_e32 v19, vcc_lo, s1, v15, vcc_lo
	s_clause 0x2
	global_store_b64 v[32:33], v[0:1], off
	global_store_b64 v[14:15], v[4:5], off
	global_store_b64 v[18:19], v[2:3], off
	v_add_co_u32 v20, vcc_lo, v18, s2
	s_wait_alu 0xfffd
	v_add_co_ci_u32_e32 v21, vcc_lo, s3, v19, vcc_lo
	s_delay_alu instid0(VALU_DEP_2) | instskip(SKIP_1) | instid1(VALU_DEP_2)
	v_add_co_u32 v22, vcc_lo, v20, s0
	s_wait_alu 0xfffd
	v_add_co_ci_u32_e32 v23, vcc_lo, s1, v21, vcc_lo
	s_delay_alu instid0(VALU_DEP_2) | instskip(SKIP_1) | instid1(VALU_DEP_2)
	;; [unrolled: 4-line block ×4, first 2 shown]
	v_add_co_u32 v0, vcc_lo, v26, s2
	s_wait_alu 0xfffd
	v_add_co_ci_u32_e32 v1, vcc_lo, s3, v27, vcc_lo
	s_clause 0x1
	global_store_b64 v[20:21], v[6:7], off
	global_store_b64 v[22:23], v[8:9], off
	;; [unrolled: 1-line block ×5, first 2 shown]
.LBB0_10:
	s_nop 0
	s_sendmsg sendmsg(MSG_DEALLOC_VGPRS)
	s_endpgm
	.section	.rodata,"a",@progbits
	.p2align	6, 0x0
	.amdhsa_kernel bluestein_single_fwd_len896_dim1_sp_op_CI_CI
		.amdhsa_group_segment_fixed_size 7168
		.amdhsa_private_segment_fixed_size 0
		.amdhsa_kernarg_size 104
		.amdhsa_user_sgpr_count 2
		.amdhsa_user_sgpr_dispatch_ptr 0
		.amdhsa_user_sgpr_queue_ptr 0
		.amdhsa_user_sgpr_kernarg_segment_ptr 1
		.amdhsa_user_sgpr_dispatch_id 0
		.amdhsa_user_sgpr_private_segment_size 0
		.amdhsa_wavefront_size32 1
		.amdhsa_uses_dynamic_stack 0
		.amdhsa_enable_private_segment 0
		.amdhsa_system_sgpr_workgroup_id_x 1
		.amdhsa_system_sgpr_workgroup_id_y 0
		.amdhsa_system_sgpr_workgroup_id_z 0
		.amdhsa_system_sgpr_workgroup_info 0
		.amdhsa_system_vgpr_workitem_id 0
		.amdhsa_next_free_vgpr 144
		.amdhsa_next_free_sgpr 20
		.amdhsa_reserve_vcc 1
		.amdhsa_float_round_mode_32 0
		.amdhsa_float_round_mode_16_64 0
		.amdhsa_float_denorm_mode_32 3
		.amdhsa_float_denorm_mode_16_64 3
		.amdhsa_fp16_overflow 0
		.amdhsa_workgroup_processor_mode 1
		.amdhsa_memory_ordered 1
		.amdhsa_forward_progress 0
		.amdhsa_round_robin_scheduling 0
		.amdhsa_exception_fp_ieee_invalid_op 0
		.amdhsa_exception_fp_denorm_src 0
		.amdhsa_exception_fp_ieee_div_zero 0
		.amdhsa_exception_fp_ieee_overflow 0
		.amdhsa_exception_fp_ieee_underflow 0
		.amdhsa_exception_fp_ieee_inexact 0
		.amdhsa_exception_int_div_zero 0
	.end_amdhsa_kernel
	.text
.Lfunc_end0:
	.size	bluestein_single_fwd_len896_dim1_sp_op_CI_CI, .Lfunc_end0-bluestein_single_fwd_len896_dim1_sp_op_CI_CI
                                        ; -- End function
	.section	.AMDGPU.csdata,"",@progbits
; Kernel info:
; codeLenInByte = 10212
; NumSgprs: 22
; NumVgprs: 144
; ScratchSize: 0
; MemoryBound: 0
; FloatMode: 240
; IeeeMode: 1
; LDSByteSize: 7168 bytes/workgroup (compile time only)
; SGPRBlocks: 2
; VGPRBlocks: 17
; NumSGPRsForWavesPerEU: 22
; NumVGPRsForWavesPerEU: 144
; Occupancy: 10
; WaveLimiterHint : 1
; COMPUTE_PGM_RSRC2:SCRATCH_EN: 0
; COMPUTE_PGM_RSRC2:USER_SGPR: 2
; COMPUTE_PGM_RSRC2:TRAP_HANDLER: 0
; COMPUTE_PGM_RSRC2:TGID_X_EN: 1
; COMPUTE_PGM_RSRC2:TGID_Y_EN: 0
; COMPUTE_PGM_RSRC2:TGID_Z_EN: 0
; COMPUTE_PGM_RSRC2:TIDIG_COMP_CNT: 0
	.text
	.p2alignl 7, 3214868480
	.fill 96, 4, 3214868480
	.type	__hip_cuid_d5429c3b47282016,@object ; @__hip_cuid_d5429c3b47282016
	.section	.bss,"aw",@nobits
	.globl	__hip_cuid_d5429c3b47282016
__hip_cuid_d5429c3b47282016:
	.byte	0                               ; 0x0
	.size	__hip_cuid_d5429c3b47282016, 1

	.ident	"AMD clang version 19.0.0git (https://github.com/RadeonOpenCompute/llvm-project roc-6.4.0 25133 c7fe45cf4b819c5991fe208aaa96edf142730f1d)"
	.section	".note.GNU-stack","",@progbits
	.addrsig
	.addrsig_sym __hip_cuid_d5429c3b47282016
	.amdgpu_metadata
---
amdhsa.kernels:
  - .args:
      - .actual_access:  read_only
        .address_space:  global
        .offset:         0
        .size:           8
        .value_kind:     global_buffer
      - .actual_access:  read_only
        .address_space:  global
        .offset:         8
        .size:           8
        .value_kind:     global_buffer
      - .actual_access:  read_only
        .address_space:  global
        .offset:         16
        .size:           8
        .value_kind:     global_buffer
      - .actual_access:  read_only
        .address_space:  global
        .offset:         24
        .size:           8
        .value_kind:     global_buffer
      - .actual_access:  read_only
        .address_space:  global
        .offset:         32
        .size:           8
        .value_kind:     global_buffer
      - .offset:         40
        .size:           8
        .value_kind:     by_value
      - .address_space:  global
        .offset:         48
        .size:           8
        .value_kind:     global_buffer
      - .address_space:  global
        .offset:         56
        .size:           8
        .value_kind:     global_buffer
      - .address_space:  global
        .offset:         64
        .size:           8
        .value_kind:     global_buffer
      - .address_space:  global
        .offset:         72
        .size:           8
        .value_kind:     global_buffer
      - .offset:         80
        .size:           4
        .value_kind:     by_value
      - .address_space:  global
        .offset:         88
        .size:           8
        .value_kind:     global_buffer
      - .address_space:  global
        .offset:         96
        .size:           8
        .value_kind:     global_buffer
    .group_segment_fixed_size: 7168
    .kernarg_segment_align: 8
    .kernarg_segment_size: 104
    .language:       OpenCL C
    .language_version:
      - 2
      - 0
    .max_flat_workgroup_size: 112
    .name:           bluestein_single_fwd_len896_dim1_sp_op_CI_CI
    .private_segment_fixed_size: 0
    .sgpr_count:     22
    .sgpr_spill_count: 0
    .symbol:         bluestein_single_fwd_len896_dim1_sp_op_CI_CI.kd
    .uniform_work_group_size: 1
    .uses_dynamic_stack: false
    .vgpr_count:     144
    .vgpr_spill_count: 0
    .wavefront_size: 32
    .workgroup_processor_mode: 1
amdhsa.target:   amdgcn-amd-amdhsa--gfx1201
amdhsa.version:
  - 1
  - 2
...

	.end_amdgpu_metadata
